;; amdgpu-corpus repo=ROCm/rocFFT kind=compiled arch=gfx906 opt=O3
	.text
	.amdgcn_target "amdgcn-amd-amdhsa--gfx906"
	.amdhsa_code_object_version 6
	.protected	fft_rtc_back_len560_factors_8_7_5_2_wgs_56_tpt_56_sp_op_CI_CI_sbrr_dirReg ; -- Begin function fft_rtc_back_len560_factors_8_7_5_2_wgs_56_tpt_56_sp_op_CI_CI_sbrr_dirReg
	.globl	fft_rtc_back_len560_factors_8_7_5_2_wgs_56_tpt_56_sp_op_CI_CI_sbrr_dirReg
	.p2align	8
	.type	fft_rtc_back_len560_factors_8_7_5_2_wgs_56_tpt_56_sp_op_CI_CI_sbrr_dirReg,@function
fft_rtc_back_len560_factors_8_7_5_2_wgs_56_tpt_56_sp_op_CI_CI_sbrr_dirReg: ; @fft_rtc_back_len560_factors_8_7_5_2_wgs_56_tpt_56_sp_op_CI_CI_sbrr_dirReg
; %bb.0:
	s_load_dwordx4 s[16:19], s[4:5], 0x18
	s_load_dwordx4 s[12:15], s[4:5], 0x0
	;; [unrolled: 1-line block ×3, first 2 shown]
	v_mul_u32_u24_e32 v1, 0x493, v0
	v_add_u32_sdwa v5, s6, v1 dst_sel:DWORD dst_unused:UNUSED_PAD src0_sel:DWORD src1_sel:WORD_1
	s_waitcnt lgkmcnt(0)
	s_load_dwordx2 s[20:21], s[16:17], 0x0
	s_load_dwordx2 s[2:3], s[18:19], 0x0
	v_cmp_lt_u64_e64 s[0:1], s[14:15], 2
	v_mov_b32_e32 v3, 0
	v_mov_b32_e32 v1, 0
	;; [unrolled: 1-line block ×3, first 2 shown]
	s_and_b64 vcc, exec, s[0:1]
	v_mov_b32_e32 v2, 0
	s_cbranch_vccnz .LBB0_8
; %bb.1:
	s_load_dwordx2 s[0:1], s[4:5], 0x10
	s_add_u32 s6, s18, 8
	s_addc_u32 s7, s19, 0
	s_add_u32 s22, s16, 8
	v_mov_b32_e32 v1, 0
	s_addc_u32 s23, s17, 0
	v_mov_b32_e32 v2, 0
	s_waitcnt lgkmcnt(0)
	s_add_u32 s24, s0, 8
	v_mov_b32_e32 v37, v2
	s_addc_u32 s25, s1, 0
	s_mov_b64 s[26:27], 1
	v_mov_b32_e32 v36, v1
.LBB0_2:                                ; =>This Inner Loop Header: Depth=1
	s_load_dwordx2 s[28:29], s[24:25], 0x0
                                        ; implicit-def: $vgpr40_vgpr41
	s_waitcnt lgkmcnt(0)
	v_or_b32_e32 v4, s29, v6
	v_cmp_ne_u64_e32 vcc, 0, v[3:4]
	s_and_saveexec_b64 s[0:1], vcc
	s_xor_b64 s[30:31], exec, s[0:1]
	s_cbranch_execz .LBB0_4
; %bb.3:                                ;   in Loop: Header=BB0_2 Depth=1
	v_cvt_f32_u32_e32 v4, s28
	v_cvt_f32_u32_e32 v7, s29
	s_sub_u32 s0, 0, s28
	s_subb_u32 s1, 0, s29
	v_mac_f32_e32 v4, 0x4f800000, v7
	v_rcp_f32_e32 v4, v4
	v_mul_f32_e32 v4, 0x5f7ffffc, v4
	v_mul_f32_e32 v7, 0x2f800000, v4
	v_trunc_f32_e32 v7, v7
	v_mac_f32_e32 v4, 0xcf800000, v7
	v_cvt_u32_f32_e32 v7, v7
	v_cvt_u32_f32_e32 v4, v4
	v_mul_lo_u32 v8, s0, v7
	v_mul_hi_u32 v9, s0, v4
	v_mul_lo_u32 v11, s1, v4
	v_mul_lo_u32 v10, s0, v4
	v_add_u32_e32 v8, v9, v8
	v_add_u32_e32 v8, v8, v11
	v_mul_hi_u32 v9, v4, v10
	v_mul_lo_u32 v11, v4, v8
	v_mul_hi_u32 v13, v4, v8
	v_mul_hi_u32 v12, v7, v10
	v_mul_lo_u32 v10, v7, v10
	v_mul_hi_u32 v14, v7, v8
	v_add_co_u32_e32 v9, vcc, v9, v11
	v_addc_co_u32_e32 v11, vcc, 0, v13, vcc
	v_mul_lo_u32 v8, v7, v8
	v_add_co_u32_e32 v9, vcc, v9, v10
	v_addc_co_u32_e32 v9, vcc, v11, v12, vcc
	v_addc_co_u32_e32 v10, vcc, 0, v14, vcc
	v_add_co_u32_e32 v8, vcc, v9, v8
	v_addc_co_u32_e32 v9, vcc, 0, v10, vcc
	v_add_co_u32_e32 v4, vcc, v4, v8
	v_addc_co_u32_e32 v7, vcc, v7, v9, vcc
	v_mul_lo_u32 v8, s0, v7
	v_mul_hi_u32 v9, s0, v4
	v_mul_lo_u32 v10, s1, v4
	v_mul_lo_u32 v11, s0, v4
	v_add_u32_e32 v8, v9, v8
	v_add_u32_e32 v8, v8, v10
	v_mul_lo_u32 v12, v4, v8
	v_mul_hi_u32 v13, v4, v11
	v_mul_hi_u32 v14, v4, v8
	;; [unrolled: 1-line block ×3, first 2 shown]
	v_mul_lo_u32 v11, v7, v11
	v_mul_hi_u32 v9, v7, v8
	v_add_co_u32_e32 v12, vcc, v13, v12
	v_addc_co_u32_e32 v13, vcc, 0, v14, vcc
	v_mul_lo_u32 v8, v7, v8
	v_add_co_u32_e32 v11, vcc, v12, v11
	v_addc_co_u32_e32 v10, vcc, v13, v10, vcc
	v_addc_co_u32_e32 v9, vcc, 0, v9, vcc
	v_add_co_u32_e32 v8, vcc, v10, v8
	v_addc_co_u32_e32 v9, vcc, 0, v9, vcc
	v_add_co_u32_e32 v4, vcc, v4, v8
	v_addc_co_u32_e32 v9, vcc, v7, v9, vcc
	v_mad_u64_u32 v[7:8], s[0:1], v5, v9, 0
	v_mul_hi_u32 v10, v5, v4
	v_add_co_u32_e32 v11, vcc, v10, v7
	v_addc_co_u32_e32 v12, vcc, 0, v8, vcc
	v_mad_u64_u32 v[7:8], s[0:1], v6, v4, 0
	v_mad_u64_u32 v[9:10], s[0:1], v6, v9, 0
	v_add_co_u32_e32 v4, vcc, v11, v7
	v_addc_co_u32_e32 v4, vcc, v12, v8, vcc
	v_addc_co_u32_e32 v7, vcc, 0, v10, vcc
	v_add_co_u32_e32 v4, vcc, v4, v9
	v_addc_co_u32_e32 v9, vcc, 0, v7, vcc
	v_mul_lo_u32 v10, s29, v4
	v_mul_lo_u32 v11, s28, v9
	v_mad_u64_u32 v[7:8], s[0:1], s28, v4, 0
	v_add3_u32 v8, v8, v11, v10
	v_sub_u32_e32 v10, v6, v8
	v_mov_b32_e32 v11, s29
	v_sub_co_u32_e32 v7, vcc, v5, v7
	v_subb_co_u32_e64 v10, s[0:1], v10, v11, vcc
	v_subrev_co_u32_e64 v11, s[0:1], s28, v7
	v_subbrev_co_u32_e64 v10, s[0:1], 0, v10, s[0:1]
	v_cmp_le_u32_e64 s[0:1], s29, v10
	v_cndmask_b32_e64 v12, 0, -1, s[0:1]
	v_cmp_le_u32_e64 s[0:1], s28, v11
	v_cndmask_b32_e64 v11, 0, -1, s[0:1]
	v_cmp_eq_u32_e64 s[0:1], s29, v10
	v_cndmask_b32_e64 v10, v12, v11, s[0:1]
	v_add_co_u32_e64 v11, s[0:1], 2, v4
	v_addc_co_u32_e64 v12, s[0:1], 0, v9, s[0:1]
	v_add_co_u32_e64 v13, s[0:1], 1, v4
	v_addc_co_u32_e64 v14, s[0:1], 0, v9, s[0:1]
	v_subb_co_u32_e32 v8, vcc, v6, v8, vcc
	v_cmp_ne_u32_e64 s[0:1], 0, v10
	v_cmp_le_u32_e32 vcc, s29, v8
	v_cndmask_b32_e64 v10, v14, v12, s[0:1]
	v_cndmask_b32_e64 v12, 0, -1, vcc
	v_cmp_le_u32_e32 vcc, s28, v7
	v_cndmask_b32_e64 v7, 0, -1, vcc
	v_cmp_eq_u32_e32 vcc, s29, v8
	v_cndmask_b32_e32 v7, v12, v7, vcc
	v_cmp_ne_u32_e32 vcc, 0, v7
	v_cndmask_b32_e64 v7, v13, v11, s[0:1]
	v_cndmask_b32_e32 v41, v9, v10, vcc
	v_cndmask_b32_e32 v40, v4, v7, vcc
.LBB0_4:                                ;   in Loop: Header=BB0_2 Depth=1
	s_andn2_saveexec_b64 s[0:1], s[30:31]
	s_cbranch_execz .LBB0_6
; %bb.5:                                ;   in Loop: Header=BB0_2 Depth=1
	v_cvt_f32_u32_e32 v4, s28
	s_sub_i32 s30, 0, s28
	v_mov_b32_e32 v41, v3
	v_rcp_iflag_f32_e32 v4, v4
	v_mul_f32_e32 v4, 0x4f7ffffe, v4
	v_cvt_u32_f32_e32 v4, v4
	v_mul_lo_u32 v7, s30, v4
	v_mul_hi_u32 v7, v4, v7
	v_add_u32_e32 v4, v4, v7
	v_mul_hi_u32 v4, v5, v4
	v_mul_lo_u32 v7, v4, s28
	v_add_u32_e32 v8, 1, v4
	v_sub_u32_e32 v7, v5, v7
	v_subrev_u32_e32 v9, s28, v7
	v_cmp_le_u32_e32 vcc, s28, v7
	v_cndmask_b32_e32 v7, v7, v9, vcc
	v_cndmask_b32_e32 v4, v4, v8, vcc
	v_add_u32_e32 v8, 1, v4
	v_cmp_le_u32_e32 vcc, s28, v7
	v_cndmask_b32_e32 v40, v4, v8, vcc
.LBB0_6:                                ;   in Loop: Header=BB0_2 Depth=1
	s_or_b64 exec, exec, s[0:1]
	v_mul_lo_u32 v4, v41, s28
	v_mul_lo_u32 v9, v40, s29
	v_mad_u64_u32 v[7:8], s[0:1], v40, s28, 0
	s_load_dwordx2 s[0:1], s[22:23], 0x0
	s_load_dwordx2 s[28:29], s[6:7], 0x0
	v_add3_u32 v4, v8, v9, v4
	v_sub_co_u32_e32 v5, vcc, v5, v7
	v_subb_co_u32_e32 v4, vcc, v6, v4, vcc
	s_waitcnt lgkmcnt(0)
	v_mul_lo_u32 v6, s0, v4
	v_mul_lo_u32 v7, s1, v5
	v_mad_u64_u32 v[1:2], s[0:1], s0, v5, v[1:2]
	v_mul_lo_u32 v4, s28, v4
	v_mul_lo_u32 v8, s29, v5
	v_mad_u64_u32 v[36:37], s[0:1], s28, v5, v[36:37]
	s_add_u32 s26, s26, 1
	s_addc_u32 s27, s27, 0
	s_add_u32 s6, s6, 8
	v_add3_u32 v37, v8, v37, v4
	s_addc_u32 s7, s7, 0
	v_mov_b32_e32 v4, s14
	s_add_u32 s22, s22, 8
	v_mov_b32_e32 v5, s15
	s_addc_u32 s23, s23, 0
	v_cmp_ge_u64_e32 vcc, s[26:27], v[4:5]
	s_add_u32 s24, s24, 8
	v_add3_u32 v2, v7, v2, v6
	s_addc_u32 s25, s25, 0
	s_cbranch_vccnz .LBB0_9
; %bb.7:                                ;   in Loop: Header=BB0_2 Depth=1
	v_mov_b32_e32 v5, v40
	v_mov_b32_e32 v6, v41
	s_branch .LBB0_2
.LBB0_8:
	v_mov_b32_e32 v37, v2
	v_mov_b32_e32 v41, v6
	;; [unrolled: 1-line block ×4, first 2 shown]
.LBB0_9:
	s_load_dwordx2 s[0:1], s[4:5], 0x28
	s_lshl_b64 s[14:15], s[14:15], 3
	s_add_u32 s4, s18, s14
	s_addc_u32 s5, s19, s15
                                        ; implicit-def: $vgpr38
                                        ; implicit-def: $vgpr42
	s_waitcnt lgkmcnt(0)
	v_cmp_gt_u64_e32 vcc, s[0:1], v[40:41]
	v_cmp_le_u64_e64 s[0:1], s[0:1], v[40:41]
	s_and_saveexec_b64 s[6:7], s[0:1]
	s_xor_b64 s[0:1], exec, s[6:7]
; %bb.10:
	s_mov_b32 s6, 0x4924925
	v_mul_hi_u32 v1, v0, s6
	v_mul_u32_u24_e32 v1, 56, v1
	v_sub_u32_e32 v38, v0, v1
	v_add_u32_e32 v42, 56, v38
                                        ; implicit-def: $vgpr0
                                        ; implicit-def: $vgpr1_vgpr2
; %bb.11:
	s_andn2_saveexec_b64 s[6:7], s[0:1]
	s_cbranch_execz .LBB0_13
; %bb.12:
	s_add_u32 s0, s16, s14
	s_mov_b32 s14, 0x4924925
	v_mul_hi_u32 v3, v0, s14
	s_addc_u32 s1, s17, s15
	s_load_dwordx2 s[0:1], s[0:1], 0x0
	v_mul_u32_u24_e32 v3, 56, v3
	v_sub_u32_e32 v38, v0, v3
	v_mad_u64_u32 v[3:4], s[14:15], s20, v38, 0
	s_waitcnt lgkmcnt(0)
	v_mul_lo_u32 v9, s1, v40
	v_mul_lo_u32 v10, s0, v41
	v_mad_u64_u32 v[5:6], s[0:1], s0, v40, 0
	v_mov_b32_e32 v0, v4
	v_mad_u64_u32 v[7:8], s[0:1], s21, v38, v[0:1]
	v_add3_u32 v6, v6, v10, v9
	v_lshlrev_b64 v[5:6], 3, v[5:6]
	v_mov_b32_e32 v4, v7
	v_mov_b32_e32 v0, s9
	v_add_co_u32_e64 v7, s[0:1], s8, v5
	v_add_u32_e32 v42, 56, v38
	v_addc_co_u32_e64 v8, s[0:1], v0, v6, s[0:1]
	v_mad_u64_u32 v[5:6], s[0:1], s20, v42, 0
	v_lshlrev_b64 v[0:1], 3, v[1:2]
	v_add_u32_e32 v10, 0xa8, v38
	v_add_co_u32_e64 v24, s[0:1], v7, v0
	v_mov_b32_e32 v2, v6
	v_addc_co_u32_e64 v25, s[0:1], v8, v1, s[0:1]
	v_lshlrev_b64 v[0:1], 3, v[3:4]
	v_mad_u64_u32 v[2:3], s[0:1], s21, v42, v[2:3]
	v_add_u32_e32 v7, 0x70, v38
	v_mad_u64_u32 v[3:4], s[0:1], s20, v7, 0
	v_add_co_u32_e64 v0, s[0:1], v24, v0
	v_mov_b32_e32 v6, v2
	v_mov_b32_e32 v2, v4
	v_addc_co_u32_e64 v1, s[0:1], v25, v1, s[0:1]
	v_mad_u64_u32 v[7:8], s[0:1], s21, v7, v[2:3]
	v_mad_u64_u32 v[8:9], s[0:1], s20, v10, 0
	v_lshlrev_b64 v[5:6], 3, v[5:6]
	v_mov_b32_e32 v4, v7
	v_add_co_u32_e64 v5, s[0:1], v24, v5
	v_lshlrev_b64 v[2:3], 3, v[3:4]
	v_mov_b32_e32 v4, v9
	v_addc_co_u32_e64 v6, s[0:1], v25, v6, s[0:1]
	v_mad_u64_u32 v[9:10], s[0:1], s21, v10, v[4:5]
	v_add_co_u32_e64 v2, s[0:1], v24, v2
	v_add_u32_e32 v13, 0xe0, v38
	v_addc_co_u32_e64 v3, s[0:1], v25, v3, s[0:1]
	v_lshlrev_b64 v[7:8], 3, v[8:9]
	v_add_u32_e32 v14, 0x118, v38
	v_mad_u64_u32 v[9:10], s[0:1], s20, v13, 0
	v_mad_u64_u32 v[11:12], s[0:1], s20, v14, 0
	v_add_co_u32_e64 v7, s[0:1], v24, v7
	v_mov_b32_e32 v4, v10
	v_addc_co_u32_e64 v8, s[0:1], v25, v8, s[0:1]
	v_mov_b32_e32 v10, v12
	v_mad_u64_u32 v[12:13], s[0:1], s21, v13, v[4:5]
	v_add_u32_e32 v26, 0x150, v38
	v_mad_u64_u32 v[13:14], s[0:1], s21, v14, v[10:11]
	v_mad_u64_u32 v[14:15], s[0:1], s20, v26, 0
	v_mov_b32_e32 v10, v12
	global_load_dwordx2 v[16:17], v[0:1], off
	global_load_dwordx2 v[18:19], v[5:6], off
	;; [unrolled: 1-line block ×4, first 2 shown]
	v_lshlrev_b64 v[1:2], 3, v[9:10]
	v_mov_b32_e32 v0, v15
	v_add_co_u32_e64 v1, s[0:1], v24, v1
	v_addc_co_u32_e64 v2, s[0:1], v25, v2, s[0:1]
	v_mad_u64_u32 v[5:6], s[0:1], s21, v26, v[0:1]
	v_add_u32_e32 v10, 0x188, v38
	v_mad_u64_u32 v[6:7], s[0:1], s20, v10, 0
	v_mov_b32_e32 v12, v13
	v_lshlrev_b64 v[3:4], 3, v[11:12]
	v_mov_b32_e32 v0, v7
	v_add_co_u32_e64 v3, s[0:1], v24, v3
	v_addc_co_u32_e64 v4, s[0:1], v25, v4, s[0:1]
	v_mad_u64_u32 v[10:11], s[0:1], s21, v10, v[0:1]
	v_or_b32_e32 v13, 0x1c0, v38
	v_mad_u64_u32 v[11:12], s[0:1], s20, v13, 0
	v_mov_b32_e32 v15, v5
	v_lshlrev_b64 v[8:9], 3, v[14:15]
	v_mov_b32_e32 v7, v10
	v_add_co_u32_e64 v8, s[0:1], v24, v8
	v_mov_b32_e32 v0, v12
	v_addc_co_u32_e64 v9, s[0:1], v25, v9, s[0:1]
	v_lshlrev_b64 v[5:6], 3, v[6:7]
	v_mad_u64_u32 v[12:13], s[0:1], s21, v13, v[0:1]
	v_add_u32_e32 v7, 0x1f8, v38
	v_mad_u64_u32 v[13:14], s[0:1], s20, v7, 0
	v_add_co_u32_e64 v5, s[0:1], v24, v5
	v_mov_b32_e32 v0, v14
	v_addc_co_u32_e64 v6, s[0:1], v25, v6, s[0:1]
	v_mad_u64_u32 v[14:15], s[0:1], s21, v7, v[0:1]
	v_lshlrev_b64 v[10:11], 3, v[11:12]
	v_lshl_add_u32 v0, v38, 3, 0
	v_add_co_u32_e64 v10, s[0:1], v24, v10
	v_lshlrev_b64 v[12:13], 3, v[13:14]
	v_addc_co_u32_e64 v11, s[0:1], v25, v11, s[0:1]
	v_add_co_u32_e64 v12, s[0:1], v24, v12
	v_addc_co_u32_e64 v13, s[0:1], v25, v13, s[0:1]
	global_load_dwordx2 v[14:15], v[1:2], off
	global_load_dwordx2 v[24:25], v[3:4], off
	;; [unrolled: 1-line block ×6, first 2 shown]
	s_waitcnt vmcnt(8)
	ds_write2_b64 v0, v[16:17], v[18:19] offset1:56
	s_waitcnt vmcnt(6)
	ds_write2_b64 v0, v[20:21], v[22:23] offset0:112 offset1:168
	v_add_u32_e32 v1, 0x400, v0
	v_add_u32_e32 v0, 0x800, v0
	s_waitcnt vmcnt(4)
	ds_write2_b64 v1, v[14:15], v[24:25] offset0:96 offset1:152
	s_waitcnt vmcnt(2)
	ds_write2_b64 v0, v[26:27], v[28:29] offset0:80 offset1:136
	;; [unrolled: 2-line block ×3, first 2 shown]
.LBB0_13:
	s_or_b64 exec, exec, s[6:7]
	v_lshl_add_u32 v47, v38, 3, 0
	v_add_u32_e32 v16, 0x800, v47
	s_load_dwordx2 s[4:5], s[4:5], 0x0
	s_waitcnt lgkmcnt(0)
	; wave barrier
	s_waitcnt lgkmcnt(0)
	ds_read2_b64 v[0:3], v47 offset1:56
	ds_read2_b64 v[4:7], v16 offset0:24 offset1:80
	ds_read2_b64 v[8:11], v47 offset0:140 offset1:196
	;; [unrolled: 1-line block ×3, first 2 shown]
	v_cmp_gt_u32_e64 s[0:1], 14, v38
	s_waitcnt lgkmcnt(2)
	v_sub_f32_e32 v33, v0, v4
	s_waitcnt lgkmcnt(0)
	v_sub_f32_e32 v12, v8, v12
	v_fma_f32 v0, v0, 2.0, -v33
	v_fma_f32 v4, v8, 2.0, -v12
	v_sub_f32_e32 v8, v1, v5
	v_sub_f32_e32 v13, v9, v13
	v_sub_f32_e32 v34, v0, v4
	v_fma_f32 v1, v1, 2.0, -v8
	v_fma_f32 v4, v9, 2.0, -v13
	v_sub_f32_e32 v35, v1, v4
	v_add_u32_e32 v4, 0x400, v47
	v_add_u32_e32 v5, 0xc00, v47
	ds_read2_b64 v[17:20], v47 offset0:70 offset1:126
	ds_read2_b64 v[21:24], v16 offset0:94 offset1:150
	;; [unrolled: 1-line block ×4, first 2 shown]
	v_fma_f32 v4, v0, 2.0, -v34
	v_fma_f32 v5, v1, 2.0, -v35
	s_waitcnt lgkmcnt(2)
	v_sub_f32_e32 v9, v17, v21
	v_fma_f32 v0, v17, 2.0, -v9
	s_waitcnt lgkmcnt(0)
	v_sub_f32_e32 v17, v25, v29
	v_fma_f32 v1, v25, 2.0, -v17
	v_sub_f32_e32 v22, v18, v22
	v_sub_f32_e32 v21, v0, v1
	v_fma_f32 v1, v18, 2.0, -v22
	v_sub_f32_e32 v18, v26, v30
	v_fma_f32 v25, v26, 2.0, -v18
	v_add_f32_e32 v26, v33, v13
	v_sub_f32_e32 v29, v8, v12
	v_fma_f32 v12, v33, 2.0, -v26
	v_fma_f32 v13, v8, 2.0, -v29
	v_add_f32_e32 v18, v9, v18
	v_sub_f32_e32 v17, v22, v17
	v_sub_f32_e32 v25, v1, v25
	v_fma_f32 v30, v9, 2.0, -v18
	v_fma_f32 v22, v22, 2.0, -v17
	v_mov_b32_e32 v8, v12
	v_mov_b32_e32 v9, v13
	v_fma_f32 v0, v0, 2.0, -v21
	v_fma_f32 v1, v1, 2.0, -v25
	v_fmac_f32_e32 v8, 0xbf3504f3, v30
	v_fmac_f32_e32 v9, 0xbf3504f3, v22
	v_sub_f32_e32 v0, v4, v0
	v_sub_f32_e32 v1, v5, v1
	v_fmac_f32_e32 v8, 0x3f3504f3, v22
	v_fmac_f32_e32 v9, 0xbf3504f3, v30
	v_mov_b32_e32 v43, v26
	v_mov_b32_e32 v44, v29
	v_fma_f32 v4, v4, 2.0, -v0
	v_fma_f32 v5, v5, 2.0, -v1
	;; [unrolled: 1-line block ×4, first 2 shown]
	v_mad_u32_u24 v22, v38, 56, v47
	v_fmac_f32_e32 v43, 0x3f3504f3, v18
	v_fmac_f32_e32 v44, 0x3f3504f3, v17
	s_waitcnt lgkmcnt(0)
	; wave barrier
	ds_write2_b64 v22, v[4:5], v[12:13] offset1:1
	v_add_f32_e32 v4, v34, v25
	v_sub_f32_e32 v5, v35, v21
	v_fmac_f32_e32 v43, 0x3f3504f3, v17
	v_fmac_f32_e32 v44, 0xbf3504f3, v18
	v_fma_f32 v12, v34, 2.0, -v4
	v_fma_f32 v13, v35, 2.0, -v5
	;; [unrolled: 1-line block ×4, first 2 shown]
	v_sub_f32_e32 v6, v2, v6
	v_sub_f32_e32 v7, v3, v7
	ds_write2_b64 v22, v[12:13], v[17:18] offset0:2 offset1:3
	ds_write2_b64 v22, v[0:1], v[8:9] offset0:4 offset1:5
	v_fma_f32 v0, v2, 2.0, -v6
	v_fma_f32 v1, v3, 2.0, -v7
	v_sub_f32_e32 v2, v10, v14
	v_sub_f32_e32 v3, v11, v15
	v_fma_f32 v8, v10, 2.0, -v2
	v_fma_f32 v9, v11, 2.0, -v3
	v_sub_f32_e32 v10, v19, v23
	v_sub_f32_e32 v11, v20, v24
	;; [unrolled: 4-line block ×3, first 2 shown]
	v_add_f32_e32 v19, v6, v3
	v_sub_f32_e32 v20, v7, v2
	v_fma_f32 v17, v27, 2.0, -v14
	v_fma_f32 v18, v28, 2.0, -v15
	ds_write2_b64 v22, v[4:5], v[43:44] offset0:6 offset1:7
	v_fma_f32 v2, v6, 2.0, -v19
	v_fma_f32 v3, v7, 2.0, -v20
	v_add_f32_e32 v21, v10, v15
	v_sub_f32_e32 v22, v11, v14
	v_sub_f32_e32 v8, v0, v8
	;; [unrolled: 1-line block ×5, first 2 shown]
	v_fma_f32 v10, v10, 2.0, -v21
	v_fma_f32 v11, v11, 2.0, -v22
	v_mov_b32_e32 v6, v2
	v_mov_b32_e32 v7, v3
	;; [unrolled: 1-line block ×4, first 2 shown]
	v_fma_f32 v0, v0, 2.0, -v8
	v_fma_f32 v1, v1, 2.0, -v9
	;; [unrolled: 1-line block ×4, first 2 shown]
	v_fmac_f32_e32 v6, 0xbf3504f3, v10
	v_fmac_f32_e32 v7, 0xbf3504f3, v11
	;; [unrolled: 1-line block ×4, first 2 shown]
	v_sub_f32_e32 v4, v0, v4
	v_sub_f32_e32 v5, v1, v5
	v_fmac_f32_e32 v6, 0x3f3504f3, v11
	v_fmac_f32_e32 v7, 0xbf3504f3, v10
	v_add_f32_e32 v12, v8, v18
	v_sub_f32_e32 v13, v9, v17
	v_fmac_f32_e32 v14, 0x3f3504f3, v22
	v_fmac_f32_e32 v15, 0xbf3504f3, v21
	v_fma_f32 v0, v0, 2.0, -v4
	v_fma_f32 v1, v1, 2.0, -v5
	;; [unrolled: 1-line block ×8, first 2 shown]
	s_and_saveexec_b64 s[6:7], s[0:1]
	s_cbranch_execz .LBB0_15
; %bb.14:
	v_lshl_add_u32 v17, v42, 6, 0
	ds_write2_b64 v17, v[0:1], v[2:3] offset1:1
	ds_write2_b64 v17, v[8:9], v[10:11] offset0:2 offset1:3
	ds_write2_b64 v17, v[4:5], v[6:7] offset0:4 offset1:5
	ds_write2_b64 v17, v[12:13], v[14:15] offset0:6 offset1:7
.LBB0_15:
	s_or_b64 exec, exec, s[6:7]
	s_waitcnt lgkmcnt(0)
	; wave barrier
	s_waitcnt lgkmcnt(0)
	ds_read2_b64 v[24:27], v47 offset1:80
	ds_read2_b64 v[32:35], v47 offset0:160 offset1:240
	ds_read2_b64 v[28:31], v16 offset0:64 offset1:144
	ds_read_b64 v[45:46], v47 offset:3840
	v_cmp_gt_u32_e64 s[0:1], 24, v38
	v_lshl_add_u32 v48, v42, 3, 0
	s_and_saveexec_b64 s[6:7], s[0:1]
	s_cbranch_execz .LBB0_17
; %bb.16:
	v_add_u32_e32 v4, 0x800, v47
	ds_read_b64 v[43:44], v48
	ds_read2_b64 v[0:3], v47 offset0:136 offset1:216
	ds_read2_b64 v[8:11], v4 offset0:40 offset1:120
	v_add_u32_e32 v4, 0xc00, v47
	ds_read2_b64 v[4:7], v4 offset0:72 offset1:152
.LBB0_17:
	s_or_b64 exec, exec, s[6:7]
	v_and_b32_e32 v39, 7, v38
	v_mul_u32_u24_e32 v12, 6, v39
	v_lshlrev_b32_e32 v49, 3, v12
	global_load_dwordx4 v[12:15], v49, s[12:13]
	global_load_dwordx4 v[20:23], v49, s[12:13] offset:16
	global_load_dwordx4 v[16:19], v49, s[12:13] offset:32
	s_mov_b32 s9, 0x3f3bfb3b
	s_mov_b32 s14, 0xbf3bfb3b
	;; [unrolled: 1-line block ×4, first 2 shown]
	s_waitcnt lgkmcnt(0)
	; wave barrier
	s_waitcnt vmcnt(2) lgkmcnt(0)
	v_mul_f32_e32 v49, v13, v27
	v_mul_f32_e32 v50, v13, v26
	;; [unrolled: 1-line block ×4, first 2 shown]
	s_waitcnt vmcnt(1)
	v_mul_f32_e32 v55, v23, v29
	v_mul_f32_e32 v56, v23, v28
	s_waitcnt vmcnt(0)
	v_mul_f32_e32 v57, v17, v31
	v_mul_f32_e32 v58, v17, v30
	v_mul_f32_e32 v59, v19, v46
	v_mul_f32_e32 v60, v19, v45
	v_mul_f32_e32 v53, v21, v35
	v_mul_f32_e32 v54, v21, v34
	v_fmac_f32_e32 v51, v14, v32
	v_fma_f32 v32, v14, v33, -v52
	v_fmac_f32_e32 v49, v12, v26
	v_fma_f32 v26, v12, v27, -v50
	;; [unrolled: 2-line block ×6, first 2 shown]
	v_add_f32_e32 v30, v49, v59
	v_add_f32_e32 v31, v26, v29
	v_sub_f32_e32 v26, v26, v29
	v_add_f32_e32 v29, v51, v57
	v_add_f32_e32 v35, v32, v28
	v_sub_f32_e32 v28, v32, v28
	;; [unrolled: 3-line block ×4, first 2 shown]
	v_sub_f32_e32 v45, v51, v57
	v_sub_f32_e32 v49, v55, v53
	;; [unrolled: 1-line block ×8, first 2 shown]
	v_add_f32_e32 v32, v32, v33
	v_add_f32_e32 v33, v46, v50
	;; [unrolled: 1-line block ×3, first 2 shown]
	v_sub_f32_e32 v55, v49, v45
	v_sub_f32_e32 v45, v45, v34
	v_mul_f32_e32 v30, 0x3f4a47b2, v30
	v_mul_f32_e32 v31, 0x3f4a47b2, v31
	;; [unrolled: 1-line block ×4, first 2 shown]
	v_add_f32_e32 v25, v33, v25
	v_sub_f32_e32 v49, v34, v49
	v_add_f32_e32 v34, v53, v34
	v_mul_f32_e32 v53, 0x3f08b237, v55
	v_mul_f32_e32 v55, 0xbf5ff5aa, v45
	v_fma_f32 v46, v51, s9, -v46
	v_fma_f32 v50, v52, s9, -v50
	;; [unrolled: 1-line block ×3, first 2 shown]
	v_fmac_f32_e32 v30, 0x3d64c772, v29
	v_fma_f32 v29, v52, s14, -v31
	v_mov_b32_e32 v52, v25
	v_add_f32_e32 v54, v27, v28
	v_sub_f32_e32 v56, v27, v28
	v_fmac_f32_e32 v31, 0x3d64c772, v35
	v_fma_f32 v35, v45, s8, -v53
	v_fmac_f32_e32 v53, 0xbeae86e6, v49
	v_fma_f32 v49, v49, s15, -v55
	v_fmac_f32_e32 v52, 0xbf955555, v33
	v_sub_f32_e32 v27, v26, v27
	v_sub_f32_e32 v28, v28, v26
	v_add_f32_e32 v26, v54, v26
	v_mul_f32_e32 v54, 0x3f08b237, v56
	v_add_f32_e32 v24, v32, v24
	v_add_f32_e32 v33, v50, v52
	;; [unrolled: 1-line block ×3, first 2 shown]
	v_fmac_f32_e32 v35, 0xbee1c552, v34
	v_fmac_f32_e32 v49, 0xbee1c552, v34
	v_mul_f32_e32 v56, 0xbf5ff5aa, v28
	v_fma_f32 v45, v28, s8, -v54
	v_mov_b32_e32 v28, v24
	v_add_f32_e32 v57, v31, v52
	v_sub_f32_e32 v29, v50, v49
	v_add_f32_e32 v31, v35, v33
	v_sub_f32_e32 v33, v33, v35
	v_add_f32_e32 v35, v49, v50
	v_lshrrev_b32_e32 v49, 3, v38
	v_fmac_f32_e32 v54, 0xbeae86e6, v27
	v_fmac_f32_e32 v28, 0xbf955555, v32
	v_mul_u32_u24_e32 v49, 56, v49
	v_fma_f32 v55, v27, s15, -v56
	v_add_f32_e32 v56, v30, v28
	v_fmac_f32_e32 v53, 0xbee1c552, v34
	v_fmac_f32_e32 v54, 0xbee1c552, v26
	v_or_b32_e32 v49, v49, v39
	v_add_f32_e32 v32, v46, v28
	v_add_f32_e32 v46, v51, v28
	v_fmac_f32_e32 v45, 0xbee1c552, v26
	v_fmac_f32_e32 v55, 0xbee1c552, v26
	v_add_f32_e32 v26, v54, v56
	v_sub_f32_e32 v27, v57, v53
	v_lshl_add_u32 v49, v49, 3, 0
	v_add_f32_e32 v28, v55, v46
	v_sub_f32_e32 v30, v32, v45
	v_add_f32_e32 v32, v45, v32
	v_sub_f32_e32 v34, v46, v55
	v_sub_f32_e32 v45, v56, v54
	v_add_f32_e32 v46, v53, v57
	ds_write2_b64 v49, v[24:25], v[26:27] offset1:8
	ds_write2_b64 v49, v[28:29], v[30:31] offset0:16 offset1:24
	ds_write2_b64 v49, v[32:33], v[34:35] offset0:32 offset1:40
	ds_write_b64 v49, v[45:46] offset:384
	s_and_saveexec_b64 s[6:7], s[0:1]
	s_cbranch_execz .LBB0_19
; %bb.18:
	v_mul_f32_e32 v24, v1, v13
	v_mul_f32_e32 v25, v7, v19
	v_fmac_f32_e32 v24, v0, v12
	v_fmac_f32_e32 v25, v6, v18
	v_mul_f32_e32 v6, v6, v19
	v_mul_f32_e32 v0, v0, v13
	;; [unrolled: 1-line block ×3, first 2 shown]
	v_fma_f32 v6, v7, v18, -v6
	v_fma_f32 v7, v1, v12, -v0
	v_mul_f32_e32 v0, v8, v21
	v_fmac_f32_e32 v28, v8, v20
	v_fma_f32 v8, v9, v20, -v0
	v_mul_f32_e32 v0, v10, v23
	v_fma_f32 v9, v11, v22, -v0
	v_add_f32_e32 v12, v7, v6
	v_add_f32_e32 v0, v8, v9
	v_mul_f32_e32 v27, v11, v23
	v_sub_f32_e32 v1, v12, v0
	v_fmac_f32_e32 v27, v10, v22
	v_mul_f32_e32 v32, v5, v17
	v_mul_f32_e32 v10, 0x3f4a47b2, v1
	;; [unrolled: 1-line block ×4, first 2 shown]
	v_fmac_f32_e32 v32, v4, v16
	v_fma_f32 v4, v5, v16, -v1
	v_mul_f32_e32 v1, v2, v15
	v_fmac_f32_e32 v31, v2, v14
	v_fma_f32 v2, v3, v14, -v1
	v_add_f32_e32 v5, v2, v4
	v_sub_f32_e32 v1, v0, v5
	v_mov_b32_e32 v3, v10
	v_mul_f32_e32 v11, 0x3d64c772, v1
	v_fmac_f32_e32 v3, 0x3d64c772, v1
	v_add_f32_e32 v1, v5, v12
	v_add_f32_e32 v0, v0, v1
	;; [unrolled: 1-line block ×3, first 2 shown]
	v_mov_b32_e32 v13, v1
	v_fmac_f32_e32 v13, 0xbf955555, v0
	v_add_f32_e32 v15, v24, v25
	v_add_f32_e32 v0, v28, v27
	v_sub_f32_e32 v16, v15, v0
	v_mul_f32_e32 v16, 0x3f4a47b2, v16
	v_add_f32_e32 v17, v31, v32
	v_sub_f32_e32 v18, v0, v17
	v_mov_b32_e32 v20, v16
	v_mul_f32_e32 v19, 0x3d64c772, v18
	v_fmac_f32_e32 v20, 0x3d64c772, v18
	v_add_f32_e32 v18, v17, v15
	v_add_f32_e32 v18, v0, v18
	v_sub_f32_e32 v6, v7, v6
	v_sub_f32_e32 v7, v9, v8
	;; [unrolled: 1-line block ×3, first 2 shown]
	v_add_f32_e32 v0, v43, v18
	v_sub_f32_e32 v2, v7, v4
	v_sub_f32_e32 v26, v24, v25
	;; [unrolled: 1-line block ×4, first 2 shown]
	v_mov_b32_e32 v21, v0
	v_mul_f32_e32 v9, 0x3f08b237, v2
	v_add_f32_e32 v2, v7, v4
	v_sub_f32_e32 v34, v29, v33
	v_fmac_f32_e32 v21, 0xbf955555, v18
	v_sub_f32_e32 v8, v6, v7
	v_add_f32_e32 v22, v2, v6
	v_sub_f32_e32 v7, v33, v26
	v_sub_f32_e32 v6, v4, v6
	;; [unrolled: 1-line block ×3, first 2 shown]
	v_mul_f32_e32 v34, 0x3f08b237, v34
	v_add_f32_e32 v29, v29, v33
	v_add_f32_e32 v18, v20, v21
	v_mov_b32_e32 v20, v9
	v_mul_f32_e32 v23, 0xbf5ff5aa, v7
	v_sub_f32_e32 v12, v5, v12
	v_mul_f32_e32 v4, 0xbf5ff5aa, v6
	v_add_f32_e32 v29, v29, v26
	v_fmac_f32_e32 v20, 0xbeae86e6, v8
	v_fma_f32 v23, v30, s15, -v23
	v_fma_f32 v5, v12, s14, -v10
	v_sub_f32_e32 v15, v17, v15
	v_fma_f32 v17, v8, s15, -v4
	v_fma_f32 v8, v12, s9, -v11
	;; [unrolled: 1-line block ×3, first 2 shown]
	v_fmac_f32_e32 v23, 0xbee1c552, v29
	v_add_f32_e32 v10, v5, v13
	v_add_f32_e32 v8, v8, v13
	v_fmac_f32_e32 v11, 0xbee1c552, v29
	v_add_f32_e32 v5, v23, v10
	v_sub_f32_e32 v7, v8, v11
	v_fma_f32 v12, v6, s8, -v9
	v_add_f32_e32 v9, v11, v8
	v_sub_f32_e32 v11, v10, v23
	v_lshrrev_b32_e32 v10, 3, v42
	v_fma_f32 v16, v15, s14, -v16
	v_fma_f32 v6, v15, s9, -v19
	v_mul_lo_u32 v15, v10, 56
	v_mov_b32_e32 v35, v34
	v_fmac_f32_e32 v35, 0xbeae86e6, v30
	v_fmac_f32_e32 v35, 0xbee1c552, v29
	v_add_f32_e32 v14, v3, v13
	v_fmac_f32_e32 v12, 0xbee1c552, v22
	v_add_f32_e32 v13, v6, v21
	v_add_f32_e32 v3, v35, v14
	v_fmac_f32_e32 v20, 0xbee1c552, v22
	v_add_f32_e32 v6, v12, v13
	v_sub_f32_e32 v8, v13, v12
	v_sub_f32_e32 v13, v14, v35
	v_or_b32_e32 v14, v15, v39
	v_add_f32_e32 v16, v16, v21
	v_fmac_f32_e32 v17, 0xbee1c552, v22
	v_add_f32_e32 v12, v20, v18
	v_lshl_add_u32 v14, v14, 3, 0
	v_sub_f32_e32 v2, v18, v20
	v_sub_f32_e32 v4, v16, v17
	v_add_f32_e32 v10, v17, v16
	ds_write2_b64 v14, v[0:1], v[12:13] offset1:8
	ds_write2_b64 v14, v[10:11], v[8:9] offset0:16 offset1:24
	ds_write2_b64 v14, v[6:7], v[4:5] offset0:32 offset1:40
	ds_write_b64 v14, v[2:3] offset:384
.LBB0_19:
	s_or_b64 exec, exec, s[6:7]
	v_lshlrev_b32_e32 v23, 2, v38
	v_mov_b32_e32 v24, 0
	v_lshlrev_b64 v[0:1], 3, v[23:24]
	v_mov_b32_e32 v29, s13
	v_add_co_u32_e64 v8, s[0:1], s12, v0
	v_addc_co_u32_e64 v9, s[0:1], v29, v1, s[0:1]
	s_waitcnt lgkmcnt(0)
	; wave barrier
	s_waitcnt lgkmcnt(0)
	global_load_dwordx4 v[0:3], v[8:9], off offset:384
	global_load_dwordx4 v[4:7], v[8:9], off offset:400
	ds_read2_b64 v[8:11], v47 offset1:112
	ds_read2_b64 v[12:15], v47 offset0:168 offset1:224
	v_add_u32_e32 v30, 0x800, v47
	ds_read_b64 v[25:26], v48
	ds_read_b64 v[27:28], v47 offset:4032
	ds_read2_b64 v[16:19], v30 offset0:24 offset1:80
	ds_read2_b64 v[20:23], v30 offset0:136 offset1:192
	s_waitcnt lgkmcnt(0)
	; wave barrier
	s_waitcnt vmcnt(1) lgkmcnt(0)
	v_mul_f32_e32 v31, v1, v11
	v_mul_f32_e32 v33, v3, v15
	s_waitcnt vmcnt(0)
	v_mul_f32_e32 v35, v5, v19
	v_mul_f32_e32 v43, v7, v23
	;; [unrolled: 1-line block ×11, first 2 shown]
	v_fmac_f32_e32 v31, v0, v10
	v_fmac_f32_e32 v33, v2, v14
	;; [unrolled: 1-line block ×4, first 2 shown]
	v_mul_f32_e32 v44, v7, v22
	v_mul_f32_e32 v50, v28, v7
	;; [unrolled: 1-line block ×3, first 2 shown]
	v_fma_f32 v32, v0, v11, -v32
	v_fma_f32 v14, v2, v15, -v34
	;; [unrolled: 1-line block ×3, first 2 shown]
	v_fmac_f32_e32 v45, v0, v12
	v_fma_f32 v19, v0, v13, -v1
	v_fmac_f32_e32 v46, v16, v2
	v_fma_f32 v22, v17, v2, -v3
	;; [unrolled: 2-line block ×3, first 2 shown]
	v_add_f32_e32 v0, v8, v31
	v_add_f32_e32 v1, v33, v35
	v_sub_f32_e32 v2, v31, v33
	v_sub_f32_e32 v4, v43, v35
	v_add_f32_e32 v5, v31, v43
	v_fma_f32 v18, v6, v23, -v44
	v_fmac_f32_e32 v50, v27, v6
	v_fma_f32 v21, v28, v6, -v7
	v_sub_f32_e32 v6, v33, v31
	v_sub_f32_e32 v10, v35, v43
	v_add_f32_e32 v11, v9, v32
	v_add_f32_e32 v12, v14, v15
	;; [unrolled: 1-line block ×3, first 2 shown]
	v_fma_f32 v0, -0.5, v1, v8
	v_add_f32_e32 v23, v2, v4
	v_fma_f32 v2, -0.5, v5, v8
	v_sub_f32_e32 v3, v32, v18
	v_sub_f32_e32 v7, v14, v15
	v_add_f32_e32 v8, v6, v10
	v_add_f32_e32 v5, v11, v14
	v_fma_f32 v1, -0.5, v12, v9
	v_mov_b32_e32 v4, v0
	v_mov_b32_e32 v6, v2
	v_sub_f32_e32 v13, v31, v43
	v_fmac_f32_e32 v0, 0x3f737871, v3
	v_fmac_f32_e32 v2, 0xbf737871, v7
	v_add_f32_e32 v11, v5, v15
	v_mov_b32_e32 v5, v1
	v_fmac_f32_e32 v4, 0xbf737871, v3
	v_fmac_f32_e32 v6, 0x3f737871, v7
	v_sub_f32_e32 v16, v33, v35
	v_fmac_f32_e32 v0, 0x3f167918, v7
	v_fmac_f32_e32 v2, 0x3f167918, v3
	;; [unrolled: 1-line block ×5, first 2 shown]
	v_sub_f32_e32 v3, v32, v14
	v_sub_f32_e32 v7, v18, v15
	v_fmac_f32_e32 v1, 0xbf737871, v13
	v_fmac_f32_e32 v5, 0x3f167918, v16
	v_add_f32_e32 v3, v3, v7
	v_fmac_f32_e32 v1, 0xbf167918, v16
	v_fmac_f32_e32 v5, 0x3e9e377a, v3
	;; [unrolled: 1-line block ×3, first 2 shown]
	v_add_f32_e32 v3, v32, v18
	v_fmac_f32_e32 v2, 0x3e9e377a, v8
	v_fmac_f32_e32 v6, 0x3e9e377a, v8
	v_fma_f32 v3, -0.5, v3, v9
	v_sub_f32_e32 v8, v14, v32
	v_sub_f32_e32 v9, v15, v18
	v_add_f32_e32 v8, v8, v9
	v_add_f32_e32 v9, v46, v49
	v_mov_b32_e32 v7, v3
	v_fma_f32 v12, -0.5, v9, v25
	v_fmac_f32_e32 v7, 0xbf737871, v16
	v_fmac_f32_e32 v3, 0x3f737871, v16
	v_sub_f32_e32 v9, v19, v21
	v_mov_b32_e32 v14, v12
	v_fmac_f32_e32 v7, 0x3f167918, v13
	v_fmac_f32_e32 v3, 0xbf167918, v13
	;; [unrolled: 1-line block ×3, first 2 shown]
	v_sub_f32_e32 v13, v22, v20
	v_sub_f32_e32 v15, v45, v46
	;; [unrolled: 1-line block ×3, first 2 shown]
	v_fmac_f32_e32 v12, 0x3f737871, v9
	v_fmac_f32_e32 v14, 0xbf167918, v13
	v_add_f32_e32 v15, v15, v16
	v_fmac_f32_e32 v12, 0x3f167918, v13
	v_fmac_f32_e32 v14, 0x3e9e377a, v15
	;; [unrolled: 1-line block ×3, first 2 shown]
	v_add_f32_e32 v15, v45, v50
	v_fmac_f32_e32 v7, 0x3e9e377a, v8
	v_fmac_f32_e32 v3, 0x3e9e377a, v8
	v_add_f32_e32 v8, v25, v45
	v_fma_f32 v25, -0.5, v15, v25
	v_mov_b32_e32 v16, v25
	v_add_f32_e32 v10, v17, v35
	v_fmac_f32_e32 v16, 0x3f737871, v13
	v_sub_f32_e32 v15, v46, v45
	v_sub_f32_e32 v17, v49, v50
	v_fmac_f32_e32 v25, 0xbf737871, v13
	v_add_f32_e32 v13, v22, v20
	v_fmac_f32_e32 v16, 0xbf167918, v9
	v_add_f32_e32 v15, v15, v17
	v_fmac_f32_e32 v25, 0x3f167918, v9
	v_fma_f32 v13, -0.5, v13, v26
	v_add_f32_e32 v11, v11, v18
	v_fmac_f32_e32 v16, 0x3e9e377a, v15
	v_fmac_f32_e32 v25, 0x3e9e377a, v15
	v_sub_f32_e32 v18, v45, v50
	v_mov_b32_e32 v15, v13
	v_fmac_f32_e32 v0, 0x3e9e377a, v23
	v_fmac_f32_e32 v4, 0x3e9e377a, v23
	;; [unrolled: 1-line block ×3, first 2 shown]
	v_sub_f32_e32 v23, v46, v49
	v_sub_f32_e32 v17, v19, v22
	;; [unrolled: 1-line block ×3, first 2 shown]
	v_fmac_f32_e32 v13, 0xbf737871, v18
	v_fmac_f32_e32 v15, 0x3f167918, v23
	v_add_f32_e32 v17, v17, v27
	v_fmac_f32_e32 v13, 0xbf167918, v23
	v_fmac_f32_e32 v15, 0x3e9e377a, v17
	;; [unrolled: 1-line block ×3, first 2 shown]
	v_add_f32_e32 v17, v19, v21
	v_add_f32_e32 v9, v26, v19
	v_fmac_f32_e32 v26, -0.5, v17
	v_add_f32_e32 v8, v8, v46
	v_add_f32_e32 v9, v9, v22
	v_mov_b32_e32 v17, v26
	v_add_f32_e32 v10, v10, v43
	v_add_f32_e32 v8, v8, v49
	;; [unrolled: 1-line block ×3, first 2 shown]
	v_fmac_f32_e32 v17, 0xbf737871, v23
	v_sub_f32_e32 v19, v22, v19
	v_sub_f32_e32 v20, v20, v21
	v_fmac_f32_e32 v26, 0x3f737871, v23
	v_add_f32_e32 v8, v8, v50
	v_add_f32_e32 v9, v9, v21
	v_fmac_f32_e32 v17, 0x3f167918, v18
	v_add_f32_e32 v19, v19, v20
	v_fmac_f32_e32 v26, 0xbf167918, v18
	ds_write2_b64 v47, v[10:11], v[4:5] offset1:56
	ds_write2_b64 v47, v[6:7], v[2:3] offset0:112 offset1:168
	v_add_u32_e32 v2, 0x400, v47
	v_mov_b32_e32 v39, v24
	v_fmac_f32_e32 v17, 0x3e9e377a, v19
	v_fmac_f32_e32 v26, 0x3e9e377a, v19
	ds_write2_b64 v2, v[0:1], v[8:9] offset0:96 offset1:152
	ds_write2_b64 v30, v[14:15], v[16:17] offset0:80 offset1:136
	ds_write2_b64 v30, v[25:26], v[12:13] offset0:192 offset1:248
	v_lshlrev_b64 v[0:1], 3, v[38:39]
	s_waitcnt lgkmcnt(0)
	v_add_co_u32_e64 v0, s[0:1], s12, v0
	v_addc_co_u32_e64 v1, s[0:1], v29, v1, s[0:1]
	; wave barrier
	global_load_dwordx2 v[16:17], v[0:1], off offset:2176
	v_mov_b32_e32 v43, v24
	v_lshlrev_b64 v[2:3], 3, v[42:43]
	v_add_co_u32_e64 v2, s[0:1], s12, v2
	v_addc_co_u32_e64 v3, s[0:1], v29, v3, s[0:1]
	global_load_dwordx2 v[18:19], v[2:3], off offset:2176
	global_load_dwordx2 v[20:21], v[0:1], off offset:3072
	;; [unrolled: 1-line block ×4, first 2 shown]
	ds_read2_b64 v[0:3], v47 offset1:112
	ds_read2_b64 v[4:7], v30 offset0:24 offset1:80
	ds_read_b64 v[26:27], v48
	ds_read2_b64 v[8:11], v30 offset0:136 offset1:192
	ds_read2_b64 v[12:15], v47 offset0:168 offset1:224
	ds_read_b64 v[28:29], v47 offset:4032
	s_waitcnt lgkmcnt(0)
	; wave barrier
	s_waitcnt vmcnt(4) lgkmcnt(0)
	v_mul_f32_e32 v31, v17, v5
	v_fmac_f32_e32 v31, v16, v4
	v_mul_f32_e32 v4, v17, v4
	v_fma_f32 v5, v16, v5, -v4
	v_sub_f32_e32 v5, v1, v5
	s_waitcnt vmcnt(3)
	v_mul_f32_e32 v4, v19, v6
	v_mul_f32_e32 v16, v19, v7
	v_fma_f32 v7, v18, v7, -v4
	s_waitcnt vmcnt(2)
	v_mul_f32_e32 v4, v21, v8
	v_fmac_f32_e32 v16, v18, v6
	v_mul_f32_e32 v17, v21, v9
	v_fma_f32 v18, v20, v9, -v4
	s_waitcnt vmcnt(1)
	v_mul_f32_e32 v4, v23, v10
	v_fmac_f32_e32 v17, v20, v8
	v_mul_f32_e32 v19, v23, v11
	v_fma_f32 v20, v22, v11, -v4
	s_waitcnt vmcnt(0)
	v_mul_f32_e32 v21, v25, v29
	v_mul_f32_e32 v4, v25, v28
	v_fmac_f32_e32 v19, v22, v10
	v_fmac_f32_e32 v21, v24, v28
	v_fma_f32 v22, v24, v29, -v4
	v_sub_f32_e32 v4, v0, v31
	v_fma_f32 v0, v0, 2.0, -v4
	v_fma_f32 v1, v1, 2.0, -v5
	v_sub_f32_e32 v6, v26, v16
	v_sub_f32_e32 v7, v27, v7
	;; [unrolled: 1-line block ×8, first 2 shown]
	v_fma_f32 v8, v26, 2.0, -v6
	v_fma_f32 v9, v27, 2.0, -v7
	;; [unrolled: 1-line block ×8, first 2 shown]
	ds_write_b64 v47, v[0:1]
	ds_write_b64 v47, v[4:5] offset:2240
	ds_write_b64 v48, v[8:9]
	ds_write_b64 v48, v[6:7] offset:2240
	ds_write2_b64 v47, v[2:3], v[12:13] offset0:112 offset1:168
	ds_write2_b64 v30, v[10:11], v[16:17] offset0:136 offset1:192
	ds_write_b64 v47, v[14:15] offset:1792
	ds_write_b64 v47, v[18:19] offset:4032
	s_waitcnt lgkmcnt(0)
	; wave barrier
	s_waitcnt lgkmcnt(0)
	s_and_saveexec_b64 s[0:1], vcc
	s_cbranch_execz .LBB0_21
; %bb.20:
	v_mul_lo_u32 v2, s5, v40
	v_mul_lo_u32 v3, s4, v41
	v_mad_u64_u32 v[6:7], s[0:1], s4, v40, 0
	v_mad_u64_u32 v[4:5], s[0:1], s2, v38, 0
	v_add3_u32 v7, v7, v3, v2
	v_lshlrev_b64 v[6:7], 3, v[6:7]
	v_mov_b32_e32 v8, s11
	v_add_co_u32_e32 v9, vcc, s10, v6
	v_addc_co_u32_e32 v8, vcc, v8, v7, vcc
	v_lshlrev_b64 v[6:7], 3, v[36:37]
	v_mov_b32_e32 v0, v5
	v_add_co_u32_e32 v11, vcc, v9, v6
	v_addc_co_u32_e32 v12, vcc, v8, v7, vcc
	v_add_u32_e32 v8, 56, v38
	v_mad_u64_u32 v[0:1], s[0:1], s3, v38, v[0:1]
	v_mad_u64_u32 v[6:7], s[0:1], s2, v8, 0
	v_lshl_add_u32 v10, v38, 3, 0
	v_mov_b32_e32 v5, v0
	ds_read2_b64 v[0:3], v10 offset1:56
	v_mad_u64_u32 v[7:8], s[0:1], s3, v8, v[7:8]
	v_add_u32_e32 v13, 0x70, v38
	v_lshlrev_b64 v[4:5], 3, v[4:5]
	v_mad_u64_u32 v[8:9], s[0:1], s2, v13, 0
	v_add_co_u32_e32 v4, vcc, v11, v4
	v_addc_co_u32_e32 v5, vcc, v12, v5, vcc
	s_waitcnt lgkmcnt(0)
	global_store_dwordx2 v[4:5], v[0:1], off
	v_mov_b32_e32 v4, v9
	v_mad_u64_u32 v[4:5], s[0:1], s3, v13, v[4:5]
	v_lshlrev_b64 v[0:1], 3, v[6:7]
	v_add_u32_e32 v13, 0xe0, v38
	v_mov_b32_e32 v9, v4
	v_lshlrev_b64 v[4:5], 3, v[8:9]
	v_add_u32_e32 v8, 0xa8, v38
	v_mad_u64_u32 v[6:7], s[0:1], s2, v8, 0
	v_add_co_u32_e32 v0, vcc, v11, v0
	v_addc_co_u32_e32 v1, vcc, v12, v1, vcc
	global_store_dwordx2 v[0:1], v[2:3], off
	ds_read2_b64 v[0:3], v10 offset0:112 offset1:168
	v_mad_u64_u32 v[7:8], s[0:1], s3, v8, v[7:8]
	v_mad_u64_u32 v[8:9], s[0:1], s2, v13, 0
	v_add_co_u32_e32 v4, vcc, v11, v4
	v_addc_co_u32_e32 v5, vcc, v12, v5, vcc
	s_waitcnt lgkmcnt(0)
	global_store_dwordx2 v[4:5], v[0:1], off
	v_mov_b32_e32 v4, v9
	v_mad_u64_u32 v[4:5], s[0:1], s3, v13, v[4:5]
	v_lshlrev_b64 v[0:1], 3, v[6:7]
	v_add_u32_e32 v13, 0x150, v38
	v_mov_b32_e32 v9, v4
	v_lshlrev_b64 v[4:5], 3, v[8:9]
	v_add_u32_e32 v8, 0x118, v38
	v_mad_u64_u32 v[6:7], s[0:1], s2, v8, 0
	v_add_co_u32_e32 v0, vcc, v11, v0
	v_addc_co_u32_e32 v1, vcc, v12, v1, vcc
	global_store_dwordx2 v[0:1], v[2:3], off
	v_add_u32_e32 v0, 0x400, v10
	ds_read2_b64 v[0:3], v0 offset0:96 offset1:152
	v_mad_u64_u32 v[7:8], s[0:1], s3, v8, v[7:8]
	v_mad_u64_u32 v[8:9], s[0:1], s2, v13, 0
	v_add_co_u32_e32 v4, vcc, v11, v4
	v_addc_co_u32_e32 v5, vcc, v12, v5, vcc
	s_waitcnt lgkmcnt(0)
	global_store_dwordx2 v[4:5], v[0:1], off
	v_mov_b32_e32 v4, v9
	v_mad_u64_u32 v[4:5], s[0:1], s3, v13, v[4:5]
	v_lshlrev_b64 v[0:1], 3, v[6:7]
	v_add_u32_e32 v13, 0x188, v38
	v_mov_b32_e32 v9, v4
	v_mad_u64_u32 v[4:5], s[0:1], s2, v13, 0
	v_add_co_u32_e32 v0, vcc, v11, v0
	v_addc_co_u32_e32 v1, vcc, v12, v1, vcc
	v_add_u32_e32 v10, 0x800, v10
	v_lshlrev_b64 v[6:7], 3, v[8:9]
	global_store_dwordx2 v[0:1], v[2:3], off
	ds_read2_b64 v[0:3], v10 offset0:80 offset1:136
	v_mad_u64_u32 v[8:9], s[0:1], s3, v13, v[5:6]
	v_add_co_u32_e32 v5, vcc, v11, v6
	v_addc_co_u32_e32 v6, vcc, v12, v7, vcc
	s_waitcnt lgkmcnt(0)
	global_store_dwordx2 v[5:6], v[0:1], off
	v_mov_b32_e32 v5, v8
	v_add_u32_e32 v6, 0x1c0, v38
	v_lshlrev_b64 v[0:1], 3, v[4:5]
	v_mad_u64_u32 v[4:5], s[0:1], s2, v6, 0
	v_add_co_u32_e32 v0, vcc, v11, v0
	v_addc_co_u32_e32 v1, vcc, v12, v1, vcc
	global_store_dwordx2 v[0:1], v[2:3], off
	v_mov_b32_e32 v0, v5
	v_mad_u64_u32 v[0:1], s[0:1], s3, v6, v[0:1]
	v_add_u32_e32 v8, 0x1f8, v38
	v_mad_u64_u32 v[6:7], s[0:1], s2, v8, 0
	v_mov_b32_e32 v5, v0
	ds_read2_b64 v[0:3], v10 offset0:192 offset1:248
	v_lshlrev_b64 v[4:5], 3, v[4:5]
	v_mad_u64_u32 v[7:8], s[0:1], s3, v8, v[7:8]
	v_add_co_u32_e32 v4, vcc, v11, v4
	v_addc_co_u32_e32 v5, vcc, v12, v5, vcc
	s_waitcnt lgkmcnt(0)
	global_store_dwordx2 v[4:5], v[0:1], off
	v_lshlrev_b64 v[0:1], 3, v[6:7]
	v_add_co_u32_e32 v0, vcc, v11, v0
	v_addc_co_u32_e32 v1, vcc, v12, v1, vcc
	global_store_dwordx2 v[0:1], v[2:3], off
.LBB0_21:
	s_endpgm
	.section	.rodata,"a",@progbits
	.p2align	6, 0x0
	.amdhsa_kernel fft_rtc_back_len560_factors_8_7_5_2_wgs_56_tpt_56_sp_op_CI_CI_sbrr_dirReg
		.amdhsa_group_segment_fixed_size 0
		.amdhsa_private_segment_fixed_size 0
		.amdhsa_kernarg_size 104
		.amdhsa_user_sgpr_count 6
		.amdhsa_user_sgpr_private_segment_buffer 1
		.amdhsa_user_sgpr_dispatch_ptr 0
		.amdhsa_user_sgpr_queue_ptr 0
		.amdhsa_user_sgpr_kernarg_segment_ptr 1
		.amdhsa_user_sgpr_dispatch_id 0
		.amdhsa_user_sgpr_flat_scratch_init 0
		.amdhsa_user_sgpr_private_segment_size 0
		.amdhsa_uses_dynamic_stack 0
		.amdhsa_system_sgpr_private_segment_wavefront_offset 0
		.amdhsa_system_sgpr_workgroup_id_x 1
		.amdhsa_system_sgpr_workgroup_id_y 0
		.amdhsa_system_sgpr_workgroup_id_z 0
		.amdhsa_system_sgpr_workgroup_info 0
		.amdhsa_system_vgpr_workitem_id 0
		.amdhsa_next_free_vgpr 61
		.amdhsa_next_free_sgpr 32
		.amdhsa_reserve_vcc 1
		.amdhsa_reserve_flat_scratch 0
		.amdhsa_float_round_mode_32 0
		.amdhsa_float_round_mode_16_64 0
		.amdhsa_float_denorm_mode_32 3
		.amdhsa_float_denorm_mode_16_64 3
		.amdhsa_dx10_clamp 1
		.amdhsa_ieee_mode 1
		.amdhsa_fp16_overflow 0
		.amdhsa_exception_fp_ieee_invalid_op 0
		.amdhsa_exception_fp_denorm_src 0
		.amdhsa_exception_fp_ieee_div_zero 0
		.amdhsa_exception_fp_ieee_overflow 0
		.amdhsa_exception_fp_ieee_underflow 0
		.amdhsa_exception_fp_ieee_inexact 0
		.amdhsa_exception_int_div_zero 0
	.end_amdhsa_kernel
	.text
.Lfunc_end0:
	.size	fft_rtc_back_len560_factors_8_7_5_2_wgs_56_tpt_56_sp_op_CI_CI_sbrr_dirReg, .Lfunc_end0-fft_rtc_back_len560_factors_8_7_5_2_wgs_56_tpt_56_sp_op_CI_CI_sbrr_dirReg
                                        ; -- End function
	.section	.AMDGPU.csdata,"",@progbits
; Kernel info:
; codeLenInByte = 6580
; NumSgprs: 36
; NumVgprs: 61
; ScratchSize: 0
; MemoryBound: 0
; FloatMode: 240
; IeeeMode: 1
; LDSByteSize: 0 bytes/workgroup (compile time only)
; SGPRBlocks: 4
; VGPRBlocks: 15
; NumSGPRsForWavesPerEU: 36
; NumVGPRsForWavesPerEU: 61
; Occupancy: 4
; WaveLimiterHint : 1
; COMPUTE_PGM_RSRC2:SCRATCH_EN: 0
; COMPUTE_PGM_RSRC2:USER_SGPR: 6
; COMPUTE_PGM_RSRC2:TRAP_HANDLER: 0
; COMPUTE_PGM_RSRC2:TGID_X_EN: 1
; COMPUTE_PGM_RSRC2:TGID_Y_EN: 0
; COMPUTE_PGM_RSRC2:TGID_Z_EN: 0
; COMPUTE_PGM_RSRC2:TIDIG_COMP_CNT: 0
	.type	__hip_cuid_31201509d57d887d,@object ; @__hip_cuid_31201509d57d887d
	.section	.bss,"aw",@nobits
	.globl	__hip_cuid_31201509d57d887d
__hip_cuid_31201509d57d887d:
	.byte	0                               ; 0x0
	.size	__hip_cuid_31201509d57d887d, 1

	.ident	"AMD clang version 19.0.0git (https://github.com/RadeonOpenCompute/llvm-project roc-6.4.0 25133 c7fe45cf4b819c5991fe208aaa96edf142730f1d)"
	.section	".note.GNU-stack","",@progbits
	.addrsig
	.addrsig_sym __hip_cuid_31201509d57d887d
	.amdgpu_metadata
---
amdhsa.kernels:
  - .args:
      - .actual_access:  read_only
        .address_space:  global
        .offset:         0
        .size:           8
        .value_kind:     global_buffer
      - .offset:         8
        .size:           8
        .value_kind:     by_value
      - .actual_access:  read_only
        .address_space:  global
        .offset:         16
        .size:           8
        .value_kind:     global_buffer
      - .actual_access:  read_only
        .address_space:  global
        .offset:         24
        .size:           8
        .value_kind:     global_buffer
      - .actual_access:  read_only
        .address_space:  global
        .offset:         32
        .size:           8
        .value_kind:     global_buffer
      - .offset:         40
        .size:           8
        .value_kind:     by_value
      - .actual_access:  read_only
        .address_space:  global
        .offset:         48
        .size:           8
        .value_kind:     global_buffer
      - .actual_access:  read_only
        .address_space:  global
        .offset:         56
        .size:           8
        .value_kind:     global_buffer
      - .offset:         64
        .size:           4
        .value_kind:     by_value
      - .actual_access:  read_only
        .address_space:  global
        .offset:         72
        .size:           8
        .value_kind:     global_buffer
      - .actual_access:  read_only
        .address_space:  global
        .offset:         80
        .size:           8
        .value_kind:     global_buffer
      - .actual_access:  read_only
        .address_space:  global
        .offset:         88
        .size:           8
        .value_kind:     global_buffer
      - .actual_access:  write_only
        .address_space:  global
        .offset:         96
        .size:           8
        .value_kind:     global_buffer
    .group_segment_fixed_size: 0
    .kernarg_segment_align: 8
    .kernarg_segment_size: 104
    .language:       OpenCL C
    .language_version:
      - 2
      - 0
    .max_flat_workgroup_size: 56
    .name:           fft_rtc_back_len560_factors_8_7_5_2_wgs_56_tpt_56_sp_op_CI_CI_sbrr_dirReg
    .private_segment_fixed_size: 0
    .sgpr_count:     36
    .sgpr_spill_count: 0
    .symbol:         fft_rtc_back_len560_factors_8_7_5_2_wgs_56_tpt_56_sp_op_CI_CI_sbrr_dirReg.kd
    .uniform_work_group_size: 1
    .uses_dynamic_stack: false
    .vgpr_count:     61
    .vgpr_spill_count: 0
    .wavefront_size: 64
amdhsa.target:   amdgcn-amd-amdhsa--gfx906
amdhsa.version:
  - 1
  - 2
...

	.end_amdgpu_metadata
